;; amdgpu-corpus repo=zjin-lcf/HeCBench kind=compiled arch=gfx950 opt=O3
	.amdgcn_target "amdgcn-amd-amdhsa--gfx950"
	.amdhsa_code_object_version 6
	.text
	.protected	_Z17linear_regressionPK15HIP_vector_typeIfLj2EEPS_IfLj4EE ; -- Begin function _Z17linear_regressionPK15HIP_vector_typeIfLj2EEPS_IfLj4EE
	.globl	_Z17linear_regressionPK15HIP_vector_typeIfLj2EEPS_IfLj4EE
	.p2align	8
	.type	_Z17linear_regressionPK15HIP_vector_typeIfLj2EEPS_IfLj4EE,@function
_Z17linear_regressionPK15HIP_vector_typeIfLj2EEPS_IfLj4EE: ; @_Z17linear_regressionPK15HIP_vector_typeIfLj2EEPS_IfLj4EE
; %bb.0:
	s_load_dword s3, s[0:1], 0x1c
	s_load_dwordx2 s[6:7], s[0:1], 0x0
	v_lshlrev_b32_e32 v1, 3, v0
	s_mov_b32 s5, 0
	v_lshl_add_u32 v6, v0, 4, 0
	s_waitcnt lgkmcnt(0)
	s_and_b32 s4, s3, 0xffff
	s_mul_hi_u32 s9, s4, s2
	s_mul_i32 s8, s4, s2
	s_lshl_b64 s[8:9], s[8:9], 3
	s_add_u32 s6, s6, s8
	s_addc_u32 s7, s7, s9
	global_load_dwordx2 v[2:3], v1, s[6:7]
	v_mov_b32_e32 v1, 0
	s_cmp_lt_u32 s4, 2
	s_waitcnt vmcnt(0)
	v_pk_mul_f32 v[4:5], v[2:3], v[2:3] op_sel:[1,0] op_sel_hi:[0,0]
	ds_write_b128 v6, v[2:5]
	s_waitcnt lgkmcnt(0)
	s_barrier
	s_cbranch_scc1 .LBB0_6
; %bb.1:
	s_mov_b64 s[6:7], s[4:5]
	s_branch .LBB0_3
.LBB0_2:                                ;   in Loop: Header=BB0_3 Depth=1
	s_or_b64 exec, exec, s[10:11]
	v_cmp_lt_u64_e64 s[8:9], s[8:9], 4
	s_and_b64 vcc, exec, s[8:9]
	s_waitcnt lgkmcnt(0)
	s_barrier
	s_cbranch_vccnz .LBB0_6
.LBB0_3:                                ; =>This Inner Loop Header: Depth=1
	s_mov_b64 s[8:9], s[6:7]
	s_lshr_b64 s[6:7], s[6:7], 1
	v_cmp_gt_u64_e32 vcc, s[6:7], v[0:1]
	s_and_saveexec_b64 s[10:11], vcc
	s_cbranch_execz .LBB0_2
; %bb.4:                                ;   in Loop: Header=BB0_3 Depth=1
	s_lshl_b32 s3, s8, 3
	s_and_b32 s3, s3, -16
	v_add_u32_e32 v2, s3, v6
	ds_read_b128 v[2:5], v2
	ds_read_b128 v[8:11], v6
	s_add_u32 s12, s6, -1
	s_addc_u32 s13, s7, -1
	s_bitcmp1_b32 s8, 0
	v_cmp_eq_u64_e32 vcc, s[12:13], v[0:1]
	s_cselect_b64 s[12:13], -1, 0
	s_waitcnt lgkmcnt(0)
	v_pk_add_f32 v[4:5], v[4:5], v[10:11]
	v_pk_add_f32 v[2:3], v[2:3], v[8:9]
	s_and_b64 s[12:13], s[12:13], vcc
	ds_write_b128 v6, v[2:5]
	s_and_b64 exec, exec, s[12:13]
	s_cbranch_execz .LBB0_2
; %bb.5:                                ;   in Loop: Header=BB0_3 Depth=1
	s_lshl_b32 s3, s8, 4
	s_add_i32 s3, s3, 0
	s_add_i32 s3, s3, -16
	v_mov_b32_e32 v7, s3
	ds_read_b128 v[8:11], v7
	s_waitcnt lgkmcnt(0)
	v_pk_add_f32 v[4:5], v[4:5], v[10:11]
	v_pk_add_f32 v[2:3], v[2:3], v[8:9]
	ds_write_b128 v6, v[2:5]
	s_branch .LBB0_2
.LBB0_6:
	v_cmp_eq_u32_e32 vcc, 0, v0
	s_and_saveexec_b64 s[6:7], vcc
	s_cbranch_execz .LBB0_8
; %bb.7:
	s_load_dwordx2 s[0:1], s[0:1], 0x8
	v_mov_b32_e32 v4, 0
	ds_read_b128 v[0:3], v4
	s_mov_b32 s3, s5
	s_lshl_b64 s[2:3], s[2:3], 4
	s_waitcnt lgkmcnt(0)
	s_add_u32 s0, s0, s2
	s_addc_u32 s1, s1, s3
	global_store_dwordx4 v4, v[0:3], s[0:1]
.LBB0_8:
	s_endpgm
	.section	.rodata,"a",@progbits
	.p2align	6, 0x0
	.amdhsa_kernel _Z17linear_regressionPK15HIP_vector_typeIfLj2EEPS_IfLj4EE
		.amdhsa_group_segment_fixed_size 0
		.amdhsa_private_segment_fixed_size 0
		.amdhsa_kernarg_size 272
		.amdhsa_user_sgpr_count 2
		.amdhsa_user_sgpr_dispatch_ptr 0
		.amdhsa_user_sgpr_queue_ptr 0
		.amdhsa_user_sgpr_kernarg_segment_ptr 1
		.amdhsa_user_sgpr_dispatch_id 0
		.amdhsa_user_sgpr_kernarg_preload_length 0
		.amdhsa_user_sgpr_kernarg_preload_offset 0
		.amdhsa_user_sgpr_private_segment_size 0
		.amdhsa_uses_dynamic_stack 0
		.amdhsa_enable_private_segment 0
		.amdhsa_system_sgpr_workgroup_id_x 1
		.amdhsa_system_sgpr_workgroup_id_y 0
		.amdhsa_system_sgpr_workgroup_id_z 0
		.amdhsa_system_sgpr_workgroup_info 0
		.amdhsa_system_vgpr_workitem_id 0
		.amdhsa_next_free_vgpr 12
		.amdhsa_next_free_sgpr 14
		.amdhsa_accum_offset 12
		.amdhsa_reserve_vcc 1
		.amdhsa_float_round_mode_32 0
		.amdhsa_float_round_mode_16_64 0
		.amdhsa_float_denorm_mode_32 3
		.amdhsa_float_denorm_mode_16_64 3
		.amdhsa_dx10_clamp 1
		.amdhsa_ieee_mode 1
		.amdhsa_fp16_overflow 0
		.amdhsa_tg_split 0
		.amdhsa_exception_fp_ieee_invalid_op 0
		.amdhsa_exception_fp_denorm_src 0
		.amdhsa_exception_fp_ieee_div_zero 0
		.amdhsa_exception_fp_ieee_overflow 0
		.amdhsa_exception_fp_ieee_underflow 0
		.amdhsa_exception_fp_ieee_inexact 0
		.amdhsa_exception_int_div_zero 0
	.end_amdhsa_kernel
	.text
.Lfunc_end0:
	.size	_Z17linear_regressionPK15HIP_vector_typeIfLj2EEPS_IfLj4EE, .Lfunc_end0-_Z17linear_regressionPK15HIP_vector_typeIfLj2EEPS_IfLj4EE
                                        ; -- End function
	.set _Z17linear_regressionPK15HIP_vector_typeIfLj2EEPS_IfLj4EE.num_vgpr, 12
	.set _Z17linear_regressionPK15HIP_vector_typeIfLj2EEPS_IfLj4EE.num_agpr, 0
	.set _Z17linear_regressionPK15HIP_vector_typeIfLj2EEPS_IfLj4EE.numbered_sgpr, 14
	.set _Z17linear_regressionPK15HIP_vector_typeIfLj2EEPS_IfLj4EE.num_named_barrier, 0
	.set _Z17linear_regressionPK15HIP_vector_typeIfLj2EEPS_IfLj4EE.private_seg_size, 0
	.set _Z17linear_regressionPK15HIP_vector_typeIfLj2EEPS_IfLj4EE.uses_vcc, 1
	.set _Z17linear_regressionPK15HIP_vector_typeIfLj2EEPS_IfLj4EE.uses_flat_scratch, 0
	.set _Z17linear_regressionPK15HIP_vector_typeIfLj2EEPS_IfLj4EE.has_dyn_sized_stack, 0
	.set _Z17linear_regressionPK15HIP_vector_typeIfLj2EEPS_IfLj4EE.has_recursion, 0
	.set _Z17linear_regressionPK15HIP_vector_typeIfLj2EEPS_IfLj4EE.has_indirect_call, 0
	.section	.AMDGPU.csdata,"",@progbits
; Kernel info:
; codeLenInByte = 376
; TotalNumSgprs: 20
; NumVgprs: 12
; NumAgprs: 0
; TotalNumVgprs: 12
; ScratchSize: 0
; MemoryBound: 0
; FloatMode: 240
; IeeeMode: 1
; LDSByteSize: 0 bytes/workgroup (compile time only)
; SGPRBlocks: 2
; VGPRBlocks: 1
; NumSGPRsForWavesPerEU: 20
; NumVGPRsForWavesPerEU: 12
; AccumOffset: 12
; Occupancy: 8
; WaveLimiterHint : 0
; COMPUTE_PGM_RSRC2:SCRATCH_EN: 0
; COMPUTE_PGM_RSRC2:USER_SGPR: 2
; COMPUTE_PGM_RSRC2:TRAP_HANDLER: 0
; COMPUTE_PGM_RSRC2:TGID_X_EN: 1
; COMPUTE_PGM_RSRC2:TGID_Y_EN: 0
; COMPUTE_PGM_RSRC2:TGID_Z_EN: 0
; COMPUTE_PGM_RSRC2:TIDIG_COMP_CNT: 0
; COMPUTE_PGM_RSRC3_GFX90A:ACCUM_OFFSET: 2
; COMPUTE_PGM_RSRC3_GFX90A:TG_SPLIT: 0
	.text
	.protected	_Z8rsquaredPK15HIP_vector_typeIfLj2EEfS0_PS0_ ; -- Begin function _Z8rsquaredPK15HIP_vector_typeIfLj2EEfS0_PS0_
	.globl	_Z8rsquaredPK15HIP_vector_typeIfLj2EEfS0_PS0_
	.p2align	8
	.type	_Z8rsquaredPK15HIP_vector_typeIfLj2EEfS0_PS0_,@function
_Z8rsquaredPK15HIP_vector_typeIfLj2EEfS0_PS0_: ; @_Z8rsquaredPK15HIP_vector_typeIfLj2EEfS0_PS0_
; %bb.0:
	s_load_dword s3, s[0:1], 0x2c
	s_load_dwordx2 s[8:9], s[0:1], 0x0
	s_load_dword s4, s[0:1], 0x8
	s_load_dwordx2 s[6:7], s[0:1], 0x10
	v_lshlrev_b32_e32 v6, 3, v0
	s_waitcnt lgkmcnt(0)
	s_and_b32 s16, s3, 0xffff
	s_mul_hi_u32 s11, s16, s2
	s_mul_i32 s10, s16, s2
	s_lshl_b64 s[10:11], s[10:11], 3
	s_add_u32 s8, s8, s10
	s_addc_u32 s9, s9, s11
	global_load_dwordx2 v[2:3], v6, s[8:9]
	v_mov_b32_e32 v4, s6
	s_mov_b32 s10, 0x3f2aaaab
	s_mov_b32 s3, 0x3f317218
	v_mov_b32_e32 v9, 0x3e91f4c4
	v_mov_b32_e32 v8, 0x3ecccdef
	;; [unrolled: 1-line block ×3, first 2 shown]
	s_mov_b32 s18, 0x3fb8aa3b
	s_movk_i32 s19, 0x204
	s_mov_b32 s20, 0xc2ce8ed0
	v_mov_b32_e32 v10, 0x7fc00000
	s_mov_b32 s17, 0
	v_mov_b32_e32 v1, 0
	s_waitcnt vmcnt(0)
	v_fma_f32 v5, s7, v2, v4
	v_mov_b32_e32 v4, v3
	v_pk_add_f32 v[2:3], v[4:5], s[4:5] op_sel_hi:[1,0] neg_lo:[0,1] neg_hi:[0,1]
	s_nop 0
	v_cmp_eq_f32_e32 vcc, 1.0, v3
	v_frexp_mant_f32_e64 v11, |v2|
	v_cvt_f64_f32_e64 v[12:13], |v2|
	v_cndmask_b32_e64 v5, 2.0, 1.0, vcc
	v_cmp_eq_f32_e32 vcc, 1.0, v2
	v_cmp_gt_f32_e64 s[8:9], s10, v11
	v_frexp_mant_f32_e64 v16, |v3|
	v_cndmask_b32_e64 v4, 2.0, 1.0, vcc
	v_pk_mul_f32 v[14:15], v[4:5], 0.5 op_sel_hi:[1,0]
	v_cndmask_b32_e64 v19, 1.0, 2.0, s[8:9]
	v_frexp_exp_i32_f64_e32 v12, v[12:13]
	v_cmp_gt_f32_e64 s[14:15], s10, v16
	v_trunc_f32_e32 v20, v14
	v_mul_f32_e32 v11, v11, v19
	v_subbrev_co_u32_e64 v12, s[8:9], 0, v12, s[8:9]
	v_trunc_f32_e32 v17, v4
	v_cndmask_b32_e64 v13, 1.0, 2.0, s[14:15]
	v_cmp_neq_f32_e64 s[8:9], v20, v14
	v_add_f32_e32 v14, 1.0, v11
	v_cmp_eq_f32_e64 s[6:7], v17, v4
	v_trunc_f32_e32 v17, v15
	v_mul_f32_e32 v16, v16, v13
	v_rcp_f32_e32 v19, v14
	v_cmp_neq_f32_e64 s[12:13], v17, v15
	v_add_f32_e32 v17, 1.0, v16
	v_cvt_f32_i32_e32 v12, v12
	v_rcp_f32_e32 v32, v17
	v_add_f32_e32 v13, -1.0, v11
	v_trunc_f32_e32 v18, v5
	v_add_f32_e32 v20, -1.0, v17
	v_mul_f32_e32 v23, v13, v19
	v_cmp_eq_f32_e64 s[10:11], v18, v5
	v_add_f32_e32 v15, -1.0, v16
	v_add_f32_e32 v18, -1.0, v14
	v_sub_f32_e32 v21, v16, v20
	v_mul_f32_e32 v20, v14, v23
	v_sub_f32_e32 v11, v11, v18
	v_mul_f32_e32 v16, 0x3f317218, v12
	v_mul_f32_e32 v33, v15, v32
	v_fma_f32 v24, v23, v14, -v20
	v_fma_f32 v18, v12, s3, -v16
	v_mul_f32_e32 v22, v17, v33
	v_fmac_f32_e32 v24, v23, v11
	v_fmac_f32_e32 v18, 0xb102e308, v12
	v_fma_f32 v26, v33, v17, -v22
	v_add_f32_e32 v12, v20, v24
	v_fmac_f32_e32 v26, v33, v21
	v_sub_f32_e32 v21, v13, v12
	v_mov_b32_e32 v25, v12
	v_pk_add_f32 v[12:13], v[12:13], v[20:21] neg_lo:[0,1] neg_hi:[0,1]
	v_add_f32_e32 v14, v22, v26
	v_pk_add_f32 v[12:13], v[12:13], v[24:25] neg_lo:[0,1] neg_hi:[0,1]
	v_mov_b32_e32 v27, v14
	v_add_f32_e32 v11, v12, v13
	v_add_f32_e32 v11, v21, v11
	v_mul_f32_e32 v11, v19, v11
	v_add_f32_e32 v12, v23, v11
	v_sub_f32_e32 v13, v12, v23
	v_mul_f32_e32 v17, v12, v12
	v_sub_f32_e32 v11, v11, v13
	v_fma_f32 v13, v12, v12, -v17
	v_add_f32_e32 v20, v11, v11
	v_fmac_f32_e32 v13, v12, v20
	v_add_f32_e32 v20, v17, v13
	v_fmamk_f32 v21, v20, 0x3e76c4e1, v9
	v_sub_f32_e32 v17, v20, v17
	v_fmaak_f32 v21, v20, v21, 0x3ecccdef
	v_sub_f32_e32 v17, v13, v17
	v_mul_f32_e32 v13, v20, v21
	v_fma_f32 v24, v20, v21, -v13
	v_fmac_f32_e32 v24, v17, v21
	v_add_f32_e32 v21, v13, v24
	v_add_f32_e32 v25, 0x3f2aaaaa, v21
	v_sub_f32_e32 v13, v21, v13
	v_sub_f32_e32 v13, v24, v13
	v_add_f32_e32 v24, 0xbf2aaaaa, v25
	v_add_f32_e32 v13, 0x31739010, v13
	v_sub_f32_e32 v21, v21, v24
	v_pk_mul_f32 v[28:29], v[12:13], v[20:21]
	v_pk_add_f32 v[30:31], v[12:13], v[20:21]
	v_fma_f32 v24, v20, v12, -v28
	v_fmac_f32_e32 v24, v20, v11
	v_mov_b32_e32 v29, v31
	v_fmac_f32_e32 v24, v17, v12
	v_ldexp_f32 v19, v12, 1
	v_pk_add_f32 v[12:13], v[28:29], v[24:25]
	v_ldexp_f32 v23, v11, 1
	v_sub_f32_e32 v11, v12, v28
	v_sub_f32_e32 v17, v25, v13
	v_pk_mul_f32 v[20:21], v[12:13], v[12:13] op_sel:[0,1] op_sel_hi:[1,0]
	v_sub_f32_e32 v11, v24, v11
	v_add_f32_e32 v17, v31, v17
	v_fma_f32 v24, v12, v13, -v20
	v_fmac_f32_e32 v24, v12, v17
	v_fmac_f32_e32 v24, v11, v13
	v_add_f32_e32 v17, v20, v24
	v_pk_add_f32 v[12:13], v[16:17], v[18:19]
	v_mov_b32_e32 v21, v19
	v_mov_b32_e32 v28, v17
	;; [unrolled: 1-line block ×4, first 2 shown]
	v_pk_add_f32 v[20:21], v[28:29], v[20:21] neg_lo:[0,1] neg_hi:[0,1]
	v_mov_b32_e32 v19, v12
	v_pk_add_f32 v[20:21], v[24:25], v[20:21] neg_lo:[0,1] neg_hi:[0,1]
	v_mov_b32_e32 v31, v12
	v_add_f32_e32 v11, v23, v20
	v_add_f32_e32 v17, v11, v21
	v_pk_add_f32 v[20:21], v[12:13], v[16:17] neg_lo:[0,1] neg_hi:[0,1]
	v_pk_add_f32 v[24:25], v[12:13], v[16:17]
	v_mov_b32_e32 v30, v17
	v_mov_b32_e32 v21, v25
	v_pk_add_f32 v[16:17], v[18:19], v[20:21] neg_lo:[0,1] neg_hi:[0,1]
	v_pk_add_f32 v[18:19], v[18:19], v[20:21]
	v_sub_f32_e32 v23, v15, v14
	v_pk_add_f32 v[20:21], v[18:19], v[12:13] op_sel:[1,0] op_sel_hi:[0,1] neg_lo:[0,1] neg_hi:[0,1]
	v_mov_b32_e32 v18, v25
	v_pk_mov_b32 v[12:13], v[12:13], v[20:21] op_sel:[1,0]
	v_pk_add_f32 v[24:25], v[24:25], v[20:21] op_sel_hi:[1,0] neg_lo:[0,1] neg_hi:[0,1]
	v_pk_add_f32 v[12:13], v[18:19], v[12:13] neg_lo:[0,1] neg_hi:[0,1]
	v_mov_b32_e32 v24, v16
	v_pk_add_f32 v[12:13], v[30:31], v[12:13] neg_lo:[0,1] neg_hi:[0,1]
	v_mov_b32_e32 v17, v19
	v_pk_add_f32 v[20:21], v[24:25], v[12:13]
	v_pk_add_f32 v[24:25], v[14:15], v[22:23] neg_lo:[0,1] neg_hi:[0,1]
	s_and_b64 s[12:13], s[10:11], s[12:13]
	v_pk_add_f32 v[14:15], v[24:25], v[26:27] neg_lo:[0,1] neg_hi:[0,1]
	v_cmp_class_f32_e64 s[4:5], v3, v7
	v_add_f32_e32 v11, v14, v15
	v_add_f32_e32 v11, v23, v11
	v_mul_f32_e32 v11, v32, v11
	v_add_f32_e32 v14, v33, v11
	v_sub_f32_e32 v13, v14, v33
	v_sub_f32_e32 v11, v11, v13
	v_mul_f32_e32 v13, v14, v14
	v_fma_f32 v15, v14, v14, -v13
	v_add_f32_e32 v18, v11, v11
	v_fmac_f32_e32 v15, v14, v18
	v_add_f32_e32 v22, v13, v15
	v_fmac_f32_e32 v9, 0x3e76c4e1, v22
	v_fmac_f32_e32 v8, v22, v9
	v_sub_f32_e32 v9, v22, v13
	v_sub_f32_e32 v13, v15, v9
	v_mul_f32_e32 v15, v22, v8
	v_fma_f32 v18, v22, v8, -v15
	v_fmac_f32_e32 v18, v13, v8
	v_add_f32_e32 v8, v15, v18
	v_add_f32_e32 v9, 0x3f2aaaaa, v8
	v_sub_f32_e32 v15, v8, v15
	v_sub_f32_e32 v15, v18, v15
	v_add_f32_e32 v18, 0xbf2aaaaa, v9
	v_add_f32_e32 v15, 0x31739010, v15
	v_sub_f32_e32 v23, v8, v18
	v_pk_mul_f32 v[24:25], v[14:15], v[22:23]
	v_pk_add_f32 v[26:27], v[14:15], v[22:23]
	v_fma_f32 v8, v22, v14, -v24
	v_fmac_f32_e32 v8, v22, v11
	v_mov_b32_e32 v25, v27
	v_fmac_f32_e32 v8, v13, v14
	v_pk_add_f32 v[22:23], v[24:25], v[8:9]
	v_ldexp_f32 v11, v11, 1
	v_sub_f32_e32 v13, v22, v24
	v_sub_f32_e32 v13, v8, v13
	;; [unrolled: 1-line block ×3, first 2 shown]
	v_add_f32_e32 v15, v27, v8
	v_pk_mul_f32 v[8:9], v[22:23], v[22:23] op_sel:[0,1] op_sel_hi:[1,0]
	v_cvt_f64_f32_e64 v[24:25], |v3|
	v_frexp_exp_i32_f64_e32 v9, v[24:25]
	v_subbrev_co_u32_e64 v9, s[14:15], 0, v9, s[14:15]
	v_cvt_f32_i32_e32 v9, v9
	v_fma_f32 v24, v22, v23, -v8
	v_fmac_f32_e32 v24, v22, v15
	v_fmac_f32_e32 v24, v13, v23
	v_mul_f32_e32 v22, 0x3f317218, v9
	v_fma_f32 v26, v9, s3, -v22
	v_fmac_f32_e32 v26, 0xb102e308, v9
	v_ldexp_f32 v27, v14, 1
	v_add_f32_e32 v23, v8, v24
	v_pk_add_f32 v[14:15], v[22:23], v[26:27]
	v_mov_b32_e32 v28, v23
	v_mov_b32_e32 v29, v15
	;; [unrolled: 1-line block ×3, first 2 shown]
	v_pk_add_f32 v[8:9], v[28:29], v[8:9] neg_lo:[0,1] neg_hi:[0,1]
	v_mov_b32_e32 v25, v23
	v_pk_add_f32 v[8:9], v[24:25], v[8:9] neg_lo:[0,1] neg_hi:[0,1]
	v_mov_b32_e32 v27, v14
	v_add_f32_e32 v8, v11, v8
	v_add_f32_e32 v23, v8, v9
	v_pk_add_f32 v[8:9], v[14:15], v[22:23] neg_lo:[0,1] neg_hi:[0,1]
	v_pk_add_f32 v[24:25], v[14:15], v[22:23]
	v_mov_b32_e32 v22, v23
	v_mov_b32_e32 v9, v25
	v_pk_add_f32 v[28:29], v[26:27], v[8:9] neg_lo:[0,1] neg_hi:[0,1]
	v_pk_add_f32 v[8:9], v[26:27], v[8:9]
	v_mov_b32_e32 v23, v14
	v_pk_add_f32 v[26:27], v[8:9], v[14:15] op_sel:[1,0] op_sel_hi:[0,1] neg_lo:[0,1] neg_hi:[0,1]
	v_pk_add_f32 v[30:31], v[24:25], v[26:27] op_sel_hi:[1,0] neg_lo:[0,1] neg_hi:[0,1]
	v_mov_b32_e32 v8, v25
	v_pk_mov_b32 v[24:25], v[14:15], v[26:27] op_sel:[1,0]
	v_mov_b32_e32 v30, v28
	v_pk_add_f32 v[24:25], v[8:9], v[24:25] neg_lo:[0,1] neg_hi:[0,1]
	v_mov_b32_e32 v26, v21
	v_pk_add_f32 v[14:15], v[22:23], v[24:25] neg_lo:[0,1] neg_hi:[0,1]
	v_mov_b32_e32 v24, v20
	v_pk_add_f32 v[22:23], v[30:31], v[14:15]
	v_mov_b32_e32 v8, v19
	v_mov_b32_e32 v25, v22
	;; [unrolled: 1-line block ×3, first 2 shown]
	v_pk_add_f32 v[26:27], v[24:25], v[26:27]
	v_mov_b32_e32 v29, v9
	v_pk_add_f32 v[8:9], v[8:9], v[26:27]
	v_mov_b32_e32 v13, v26
	v_mov_b32_e32 v21, v8
	;; [unrolled: 1-line block ×3, first 2 shown]
	v_pk_add_f32 v[18:19], v[20:21], v[16:17] neg_lo:[0,1] neg_hi:[0,1]
	v_pk_add_f32 v[20:21], v[22:23], v[28:29] neg_lo:[0,1] neg_hi:[0,1]
	;; [unrolled: 1-line block ×3, first 2 shown]
	v_mov_b32_e32 v19, v20
	v_mov_b32_e32 v15, v27
	v_pk_add_f32 v[18:19], v[24:25], v[18:19] neg_lo:[0,1] neg_hi:[0,1]
	v_mov_b32_e32 v17, v28
	v_pk_add_f32 v[14:15], v[14:15], v[20:21] neg_lo:[0,1] neg_hi:[0,1]
	v_pk_add_f32 v[16:17], v[16:17], v[18:19] neg_lo:[0,1] neg_hi:[0,1]
	v_mov_b32_e32 v18, v12
	v_mov_b32_e32 v19, v14
	v_pk_add_f32 v[16:17], v[18:19], v[16:17]
	v_mov_b32_e32 v14, v13
	v_pk_add_f32 v[12:13], v[16:17], v[14:15]
	s_mov_b32 s3, 0x42b17218
	v_pk_add_f32 v[14:15], v[8:9], v[12:13]
	s_and_b64 s[8:9], s[6:7], s[8:9]
	v_pk_add_f32 v[8:9], v[14:15], v[8:9] neg_lo:[0,1] neg_hi:[0,1]
	v_cmp_class_f32_e32 vcc, v2, v7
	v_pk_add_f32 v[8:9], v[12:13], v[8:9] neg_lo:[0,1] neg_hi:[0,1]
	v_pk_mul_f32 v[12:13], v[4:5], v[14:15]
	s_nop 0
	v_fma_f32 v11, v4, v14, -v12
	v_fmac_f32_e32 v11, v4, v8
	v_add_f32_e32 v4, v12, v11
	v_cmp_class_f32_e64 s[14:15], v12, v7
	v_sub_f32_e32 v8, v4, v12
	v_sub_f32_e32 v11, v11, v8
	v_cndmask_b32_e64 v12, v4, v12, s[14:15]
	v_fma_f32 v4, v5, v15, -v13
	v_fmac_f32_e32 v4, v5, v9
	v_add_f32_e32 v5, v13, v4
	v_cmp_class_f32_e64 s[14:15], v13, v7
	v_sub_f32_e32 v8, v5, v13
	v_sub_f32_e32 v8, v4, v8
	v_cndmask_b32_e64 v9, v5, v13, s[14:15]
	v_mov_b32_e32 v13, 0x37000000
	v_cmp_eq_f32_e64 s[14:15], s3, v12
	s_nop 1
	v_cndmask_b32_e64 v4, 0, v13, s[14:15]
	v_sub_f32_e32 v14, v12, v4
	v_mul_f32_e32 v5, 0x3fb8aa3b, v14
	v_fma_f32 v15, v14, s18, -v5
	v_rndne_f32_e32 v16, v5
	v_fmac_f32_e32 v15, 0x32a5705f, v14
	v_sub_f32_e32 v5, v5, v16
	v_add_f32_e32 v5, v5, v15
	v_exp_f32_e32 v15, v5
	v_cvt_i32_f32_e32 v16, v16
	v_cmp_class_f32_e64 s[14:15], v9, s19
	s_nop 1
	v_cndmask_b32_e64 v5, v8, 0, s[14:15]
	v_ldexp_f32 v8, v15, v16
	v_cmp_ngt_f32_e64 s[14:15], s20, v14
	v_mov_b32_e32 v15, 0x7f800000
	s_nop 0
	v_cndmask_b32_e64 v8, 0, v8, s[14:15]
	v_cmp_nlt_f32_e64 s[14:15], s3, v14
	s_nop 1
	v_cndmask_b32_e64 v8, v15, v8, s[14:15]
	v_cmp_eq_f32_e64 s[14:15], s3, v9
	s_nop 1
	v_cndmask_b32_e64 v13, 0, v13, s[14:15]
	v_sub_f32_e32 v9, v9, v13
	v_mul_f32_e32 v14, 0x3fb8aa3b, v9
	v_fma_f32 v16, v9, s18, -v14
	v_rndne_f32_e32 v17, v14
	v_fmac_f32_e32 v16, 0x32a5705f, v9
	v_sub_f32_e32 v14, v14, v17
	v_add_f32_e32 v14, v14, v16
	v_exp_f32_e32 v14, v14
	v_cvt_i32_f32_e32 v16, v17
	v_cmp_class_f32_e64 s[14:15], v12, s19
	s_nop 1
	v_cndmask_b32_e64 v12, v11, 0, s[14:15]
	v_ldexp_f32 v11, v14, v16
	v_cmp_ngt_f32_e64 s[14:15], s20, v9
	v_pk_add_f32 v[4:5], v[12:13], v[4:5]
	s_nop 0
	v_cndmask_b32_e64 v11, 0, v11, s[14:15]
	v_cmp_nlt_f32_e64 s[14:15], s3, v9
	s_brev_b32 s3, -2
	s_nop 0
	v_cndmask_b32_e64 v9, v15, v11, s[14:15]
	v_pk_fma_f32 v[4:5], v[8:9], v[4:5], v[8:9]
	v_cmp_class_f32_e64 s[14:15], v9, v7
	v_cndmask_b32_e64 v11, 0, v3, s[12:13]
	s_nop 0
	v_cndmask_b32_e64 v5, v5, v9, s[14:15]
	v_cndmask_b32_e64 v9, 1.0, v3, s[12:13]
	v_bfi_b32 v5, s3, v5, v9
	v_cndmask_b32_e64 v9, v10, v5, s[10:11]
	v_cmp_gt_f32_e64 s[10:11], 0, v3
	s_nop 1
	v_cndmask_b32_e64 v5, v5, v9, s[10:11]
	v_cmp_eq_f32_e64 s[10:11], 0, v3
	s_or_b64 s[4:5], s[10:11], s[4:5]
	s_nop 0
	v_cndmask_b32_e64 v9, v15, 0, s[10:11]
	v_cmp_class_f32_e64 s[10:11], v8, v7
	v_cndmask_b32_e64 v7, 1.0, v2, s[8:9]
	v_bfi_b32 v9, s3, v9, v11
	v_cndmask_b32_e64 v4, v4, v8, s[10:11]
	v_bfi_b32 v4, s3, v4, v7
	v_cndmask_b32_e64 v7, v10, v4, s[6:7]
	v_cmp_gt_f32_e64 s[6:7], 0, v2
	v_cndmask_b32_e64 v8, 0, v2, s[8:9]
	v_cndmask_b32_e64 v5, v5, v9, s[4:5]
	v_cndmask_b32_e64 v7, v4, v7, s[6:7]
	v_cmp_eq_f32_e64 s[6:7], 0, v2
	s_or_b64 vcc, s[6:7], vcc
	s_cmp_lt_u32 s16, 2
	v_cndmask_b32_e64 v4, v15, 0, s[6:7]
	v_bfi_b32 v8, s3, v4, v8
	v_add_u32_e32 v4, 0, v6
	v_cndmask_b32_e32 v6, v7, v8, vcc
	v_cmp_o_f32_e32 vcc, v3, v3
	s_nop 1
	v_cndmask_b32_e32 v3, v10, v5, vcc
	v_cmp_o_f32_e32 vcc, v2, v2
	s_nop 1
	v_cndmask_b32_e32 v2, v10, v6, vcc
	ds_write_b64 v4, v[2:3]
	s_waitcnt lgkmcnt(0)
	s_barrier
	s_cbranch_scc1 .LBB1_6
; %bb.1:
	s_mov_b64 s[4:5], s[16:17]
	s_branch .LBB1_3
.LBB1_2:                                ;   in Loop: Header=BB1_3 Depth=1
	s_or_b64 exec, exec, s[8:9]
	v_cmp_lt_u64_e64 s[6:7], s[6:7], 4
	s_and_b64 vcc, exec, s[6:7]
	s_waitcnt lgkmcnt(0)
	s_barrier
	s_cbranch_vccnz .LBB1_6
.LBB1_3:                                ; =>This Inner Loop Header: Depth=1
	s_mov_b64 s[6:7], s[4:5]
	s_lshr_b64 s[4:5], s[4:5], 1
	v_cmp_gt_u64_e32 vcc, s[4:5], v[0:1]
	s_and_saveexec_b64 s[8:9], vcc
	s_cbranch_execz .LBB1_2
; %bb.4:                                ;   in Loop: Header=BB1_3 Depth=1
	s_lshl_b32 s3, s6, 2
	s_and_b32 s3, s3, -8
	v_add_u32_e32 v2, s3, v4
	ds_read_b64 v[2:3], v2
	ds_read_b64 v[6:7], v4
	s_add_u32 s10, s4, -1
	s_addc_u32 s11, s5, -1
	s_bitcmp1_b32 s6, 0
	v_cmp_eq_u64_e32 vcc, s[10:11], v[0:1]
	s_cselect_b64 s[10:11], -1, 0
	s_waitcnt lgkmcnt(0)
	v_pk_add_f32 v[2:3], v[2:3], v[6:7]
	s_and_b64 s[10:11], s[10:11], vcc
	ds_write_b64 v4, v[2:3]
	s_and_b64 exec, exec, s[10:11]
	s_cbranch_execz .LBB1_2
; %bb.5:                                ;   in Loop: Header=BB1_3 Depth=1
	s_lshl_b32 s3, s6, 3
	s_add_i32 s3, s3, 0
	s_add_i32 s3, s3, -8
	v_mov_b32_e32 v5, s3
	ds_read_b64 v[6:7], v5
	s_waitcnt lgkmcnt(0)
	v_pk_add_f32 v[2:3], v[2:3], v[6:7]
	ds_write_b64 v4, v[2:3]
	s_branch .LBB1_2
.LBB1_6:
	v_cmp_eq_u32_e32 vcc, 0, v0
	s_and_saveexec_b64 s[4:5], vcc
	s_cbranch_execz .LBB1_8
; %bb.7:
	s_load_dwordx2 s[0:1], s[0:1], 0x18
	v_mov_b32_e32 v2, 0
	ds_read_b64 v[0:1], v2
	s_mov_b32 s3, s17
	s_lshl_b64 s[2:3], s[2:3], 3
	s_waitcnt lgkmcnt(0)
	s_add_u32 s0, s0, s2
	s_addc_u32 s1, s1, s3
	global_store_dwordx2 v2, v[0:1], s[0:1]
.LBB1_8:
	s_endpgm
	.section	.rodata,"a",@progbits
	.p2align	6, 0x0
	.amdhsa_kernel _Z8rsquaredPK15HIP_vector_typeIfLj2EEfS0_PS0_
		.amdhsa_group_segment_fixed_size 0
		.amdhsa_private_segment_fixed_size 0
		.amdhsa_kernarg_size 288
		.amdhsa_user_sgpr_count 2
		.amdhsa_user_sgpr_dispatch_ptr 0
		.amdhsa_user_sgpr_queue_ptr 0
		.amdhsa_user_sgpr_kernarg_segment_ptr 1
		.amdhsa_user_sgpr_dispatch_id 0
		.amdhsa_user_sgpr_kernarg_preload_length 0
		.amdhsa_user_sgpr_kernarg_preload_offset 0
		.amdhsa_user_sgpr_private_segment_size 0
		.amdhsa_uses_dynamic_stack 0
		.amdhsa_enable_private_segment 0
		.amdhsa_system_sgpr_workgroup_id_x 1
		.amdhsa_system_sgpr_workgroup_id_y 0
		.amdhsa_system_sgpr_workgroup_id_z 0
		.amdhsa_system_sgpr_workgroup_info 0
		.amdhsa_system_vgpr_workitem_id 0
		.amdhsa_next_free_vgpr 34
		.amdhsa_next_free_sgpr 21
		.amdhsa_accum_offset 36
		.amdhsa_reserve_vcc 1
		.amdhsa_float_round_mode_32 0
		.amdhsa_float_round_mode_16_64 0
		.amdhsa_float_denorm_mode_32 3
		.amdhsa_float_denorm_mode_16_64 3
		.amdhsa_dx10_clamp 1
		.amdhsa_ieee_mode 1
		.amdhsa_fp16_overflow 0
		.amdhsa_tg_split 0
		.amdhsa_exception_fp_ieee_invalid_op 0
		.amdhsa_exception_fp_denorm_src 0
		.amdhsa_exception_fp_ieee_div_zero 0
		.amdhsa_exception_fp_ieee_overflow 0
		.amdhsa_exception_fp_ieee_underflow 0
		.amdhsa_exception_fp_ieee_inexact 0
		.amdhsa_exception_int_div_zero 0
	.end_amdhsa_kernel
	.text
.Lfunc_end1:
	.size	_Z8rsquaredPK15HIP_vector_typeIfLj2EEfS0_PS0_, .Lfunc_end1-_Z8rsquaredPK15HIP_vector_typeIfLj2EEfS0_PS0_
                                        ; -- End function
	.set _Z8rsquaredPK15HIP_vector_typeIfLj2EEfS0_PS0_.num_vgpr, 34
	.set _Z8rsquaredPK15HIP_vector_typeIfLj2EEfS0_PS0_.num_agpr, 0
	.set _Z8rsquaredPK15HIP_vector_typeIfLj2EEfS0_PS0_.numbered_sgpr, 21
	.set _Z8rsquaredPK15HIP_vector_typeIfLj2EEfS0_PS0_.num_named_barrier, 0
	.set _Z8rsquaredPK15HIP_vector_typeIfLj2EEfS0_PS0_.private_seg_size, 0
	.set _Z8rsquaredPK15HIP_vector_typeIfLj2EEfS0_PS0_.uses_vcc, 1
	.set _Z8rsquaredPK15HIP_vector_typeIfLj2EEfS0_PS0_.uses_flat_scratch, 0
	.set _Z8rsquaredPK15HIP_vector_typeIfLj2EEfS0_PS0_.has_dyn_sized_stack, 0
	.set _Z8rsquaredPK15HIP_vector_typeIfLj2EEfS0_PS0_.has_recursion, 0
	.set _Z8rsquaredPK15HIP_vector_typeIfLj2EEfS0_PS0_.has_indirect_call, 0
	.section	.AMDGPU.csdata,"",@progbits
; Kernel info:
; codeLenInByte = 2420
; TotalNumSgprs: 27
; NumVgprs: 34
; NumAgprs: 0
; TotalNumVgprs: 34
; ScratchSize: 0
; MemoryBound: 0
; FloatMode: 240
; IeeeMode: 1
; LDSByteSize: 0 bytes/workgroup (compile time only)
; SGPRBlocks: 3
; VGPRBlocks: 4
; NumSGPRsForWavesPerEU: 27
; NumVGPRsForWavesPerEU: 34
; AccumOffset: 36
; Occupancy: 8
; WaveLimiterHint : 0
; COMPUTE_PGM_RSRC2:SCRATCH_EN: 0
; COMPUTE_PGM_RSRC2:USER_SGPR: 2
; COMPUTE_PGM_RSRC2:TRAP_HANDLER: 0
; COMPUTE_PGM_RSRC2:TGID_X_EN: 1
; COMPUTE_PGM_RSRC2:TGID_Y_EN: 0
; COMPUTE_PGM_RSRC2:TGID_Z_EN: 0
; COMPUTE_PGM_RSRC2:TIDIG_COMP_CNT: 0
; COMPUTE_PGM_RSRC3_GFX90A:ACCUM_OFFSET: 8
; COMPUTE_PGM_RSRC3_GFX90A:TG_SPLIT: 0
	.text
	.p2alignl 6, 3212836864
	.fill 256, 4, 3212836864
	.section	.AMDGPU.gpr_maximums,"",@progbits
	.set amdgpu.max_num_vgpr, 0
	.set amdgpu.max_num_agpr, 0
	.set amdgpu.max_num_sgpr, 0
	.text
	.type	__hip_cuid_dc29b22d80b23dca,@object ; @__hip_cuid_dc29b22d80b23dca
	.section	.bss,"aw",@nobits
	.globl	__hip_cuid_dc29b22d80b23dca
__hip_cuid_dc29b22d80b23dca:
	.byte	0                               ; 0x0
	.size	__hip_cuid_dc29b22d80b23dca, 1

	.ident	"AMD clang version 22.0.0git (https://github.com/RadeonOpenCompute/llvm-project roc-7.2.4 26084 f58b06dce1f9c15707c5f808fd002e18c2accf7e)"
	.section	".note.GNU-stack","",@progbits
	.addrsig
	.addrsig_sym __hip_cuid_dc29b22d80b23dca
	.amdgpu_metadata
---
amdhsa.kernels:
  - .agpr_count:     0
    .args:
      - .actual_access:  read_only
        .address_space:  global
        .offset:         0
        .size:           8
        .value_kind:     global_buffer
      - .actual_access:  write_only
        .address_space:  global
        .offset:         8
        .size:           8
        .value_kind:     global_buffer
      - .offset:         16
        .size:           4
        .value_kind:     hidden_block_count_x
      - .offset:         20
        .size:           4
        .value_kind:     hidden_block_count_y
      - .offset:         24
        .size:           4
        .value_kind:     hidden_block_count_z
      - .offset:         28
        .size:           2
        .value_kind:     hidden_group_size_x
      - .offset:         30
        .size:           2
        .value_kind:     hidden_group_size_y
      - .offset:         32
        .size:           2
        .value_kind:     hidden_group_size_z
      - .offset:         34
        .size:           2
        .value_kind:     hidden_remainder_x
      - .offset:         36
        .size:           2
        .value_kind:     hidden_remainder_y
      - .offset:         38
        .size:           2
        .value_kind:     hidden_remainder_z
      - .offset:         56
        .size:           8
        .value_kind:     hidden_global_offset_x
      - .offset:         64
        .size:           8
        .value_kind:     hidden_global_offset_y
      - .offset:         72
        .size:           8
        .value_kind:     hidden_global_offset_z
      - .offset:         80
        .size:           2
        .value_kind:     hidden_grid_dims
      - .offset:         136
        .size:           4
        .value_kind:     hidden_dynamic_lds_size
    .group_segment_fixed_size: 0
    .kernarg_segment_align: 8
    .kernarg_segment_size: 272
    .language:       OpenCL C
    .language_version:
      - 2
      - 0
    .max_flat_workgroup_size: 1024
    .name:           _Z17linear_regressionPK15HIP_vector_typeIfLj2EEPS_IfLj4EE
    .private_segment_fixed_size: 0
    .sgpr_count:     20
    .sgpr_spill_count: 0
    .symbol:         _Z17linear_regressionPK15HIP_vector_typeIfLj2EEPS_IfLj4EE.kd
    .uniform_work_group_size: 1
    .uses_dynamic_stack: false
    .vgpr_count:     12
    .vgpr_spill_count: 0
    .wavefront_size: 64
  - .agpr_count:     0
    .args:
      - .actual_access:  read_only
        .address_space:  global
        .offset:         0
        .size:           8
        .value_kind:     global_buffer
      - .offset:         8
        .size:           4
        .value_kind:     by_value
      - .offset:         16
        .size:           8
        .value_kind:     by_value
      - .actual_access:  write_only
        .address_space:  global
        .offset:         24
        .size:           8
        .value_kind:     global_buffer
      - .offset:         32
        .size:           4
        .value_kind:     hidden_block_count_x
      - .offset:         36
        .size:           4
        .value_kind:     hidden_block_count_y
      - .offset:         40
        .size:           4
        .value_kind:     hidden_block_count_z
      - .offset:         44
        .size:           2
        .value_kind:     hidden_group_size_x
      - .offset:         46
        .size:           2
        .value_kind:     hidden_group_size_y
      - .offset:         48
        .size:           2
        .value_kind:     hidden_group_size_z
      - .offset:         50
        .size:           2
        .value_kind:     hidden_remainder_x
      - .offset:         52
        .size:           2
        .value_kind:     hidden_remainder_y
      - .offset:         54
        .size:           2
        .value_kind:     hidden_remainder_z
      - .offset:         72
        .size:           8
        .value_kind:     hidden_global_offset_x
      - .offset:         80
        .size:           8
        .value_kind:     hidden_global_offset_y
      - .offset:         88
        .size:           8
        .value_kind:     hidden_global_offset_z
      - .offset:         96
        .size:           2
        .value_kind:     hidden_grid_dims
      - .offset:         152
        .size:           4
        .value_kind:     hidden_dynamic_lds_size
    .group_segment_fixed_size: 0
    .kernarg_segment_align: 8
    .kernarg_segment_size: 288
    .language:       OpenCL C
    .language_version:
      - 2
      - 0
    .max_flat_workgroup_size: 1024
    .name:           _Z8rsquaredPK15HIP_vector_typeIfLj2EEfS0_PS0_
    .private_segment_fixed_size: 0
    .sgpr_count:     27
    .sgpr_spill_count: 0
    .symbol:         _Z8rsquaredPK15HIP_vector_typeIfLj2EEfS0_PS0_.kd
    .uniform_work_group_size: 1
    .uses_dynamic_stack: false
    .vgpr_count:     34
    .vgpr_spill_count: 0
    .wavefront_size: 64
amdhsa.target:   amdgcn-amd-amdhsa--gfx950
amdhsa.version:
  - 1
  - 2
...

	.end_amdgpu_metadata
